;; amdgpu-corpus repo=ROCm/rocFFT kind=compiled arch=gfx1030 opt=O3
	.text
	.amdgcn_target "amdgcn-amd-amdhsa--gfx1030"
	.amdhsa_code_object_version 6
	.protected	fft_rtc_back_len1848_factors_3_11_7_4_2_wgs_231_tpt_231_halfLds_sp_op_CI_CI_unitstride_sbrr_dirReg ; -- Begin function fft_rtc_back_len1848_factors_3_11_7_4_2_wgs_231_tpt_231_halfLds_sp_op_CI_CI_unitstride_sbrr_dirReg
	.globl	fft_rtc_back_len1848_factors_3_11_7_4_2_wgs_231_tpt_231_halfLds_sp_op_CI_CI_unitstride_sbrr_dirReg
	.p2align	8
	.type	fft_rtc_back_len1848_factors_3_11_7_4_2_wgs_231_tpt_231_halfLds_sp_op_CI_CI_unitstride_sbrr_dirReg,@function
fft_rtc_back_len1848_factors_3_11_7_4_2_wgs_231_tpt_231_halfLds_sp_op_CI_CI_unitstride_sbrr_dirReg: ; @fft_rtc_back_len1848_factors_3_11_7_4_2_wgs_231_tpt_231_halfLds_sp_op_CI_CI_unitstride_sbrr_dirReg
; %bb.0:
	s_clause 0x2
	s_load_dwordx4 s[12:15], s[4:5], 0x0
	s_load_dwordx4 s[8:11], s[4:5], 0x58
	;; [unrolled: 1-line block ×3, first 2 shown]
	v_mul_u32_u24_e32 v1, 0x11c, v0
	v_mov_b32_e32 v8, 0
	v_mov_b32_e32 v6, 0
	;; [unrolled: 1-line block ×3, first 2 shown]
	v_add_nc_u32_sdwa v10, s6, v1 dst_sel:DWORD dst_unused:UNUSED_PAD src0_sel:DWORD src1_sel:WORD_1
	v_mov_b32_e32 v11, v8
	s_waitcnt lgkmcnt(0)
	v_cmp_lt_u64_e64 s0, s[14:15], 2
	s_and_b32 vcc_lo, exec_lo, s0
	s_cbranch_vccnz .LBB0_8
; %bb.1:
	s_load_dwordx2 s[0:1], s[4:5], 0x10
	v_mov_b32_e32 v6, 0
	v_mov_b32_e32 v7, 0
	s_add_u32 s2, s18, 8
	s_addc_u32 s3, s19, 0
	v_mov_b32_e32 v1, v6
	s_add_u32 s6, s16, 8
	v_mov_b32_e32 v2, v7
	s_addc_u32 s7, s17, 0
	s_mov_b64 s[22:23], 1
	s_waitcnt lgkmcnt(0)
	s_add_u32 s20, s0, 8
	s_addc_u32 s21, s1, 0
.LBB0_2:                                ; =>This Inner Loop Header: Depth=1
	s_load_dwordx2 s[24:25], s[20:21], 0x0
                                        ; implicit-def: $vgpr3_vgpr4
	s_mov_b32 s0, exec_lo
	s_waitcnt lgkmcnt(0)
	v_or_b32_e32 v9, s25, v11
	v_cmpx_ne_u64_e32 0, v[8:9]
	s_xor_b32 s1, exec_lo, s0
	s_cbranch_execz .LBB0_4
; %bb.3:                                ;   in Loop: Header=BB0_2 Depth=1
	v_cvt_f32_u32_e32 v3, s24
	v_cvt_f32_u32_e32 v4, s25
	s_sub_u32 s0, 0, s24
	s_subb_u32 s26, 0, s25
	v_fmac_f32_e32 v3, 0x4f800000, v4
	v_rcp_f32_e32 v3, v3
	v_mul_f32_e32 v3, 0x5f7ffffc, v3
	v_mul_f32_e32 v4, 0x2f800000, v3
	v_trunc_f32_e32 v4, v4
	v_fmac_f32_e32 v3, 0xcf800000, v4
	v_cvt_u32_f32_e32 v4, v4
	v_cvt_u32_f32_e32 v3, v3
	v_mul_lo_u32 v5, s0, v4
	v_mul_hi_u32 v9, s0, v3
	v_mul_lo_u32 v12, s26, v3
	v_add_nc_u32_e32 v5, v9, v5
	v_mul_lo_u32 v9, s0, v3
	v_add_nc_u32_e32 v5, v5, v12
	v_mul_hi_u32 v12, v3, v9
	v_mul_lo_u32 v13, v3, v5
	v_mul_hi_u32 v14, v3, v5
	v_mul_hi_u32 v15, v4, v9
	v_mul_lo_u32 v9, v4, v9
	v_mul_hi_u32 v16, v4, v5
	v_mul_lo_u32 v5, v4, v5
	v_add_co_u32 v12, vcc_lo, v12, v13
	v_add_co_ci_u32_e32 v13, vcc_lo, 0, v14, vcc_lo
	v_add_co_u32 v9, vcc_lo, v12, v9
	v_add_co_ci_u32_e32 v9, vcc_lo, v13, v15, vcc_lo
	v_add_co_ci_u32_e32 v12, vcc_lo, 0, v16, vcc_lo
	v_add_co_u32 v5, vcc_lo, v9, v5
	v_add_co_ci_u32_e32 v9, vcc_lo, 0, v12, vcc_lo
	v_add_co_u32 v3, vcc_lo, v3, v5
	v_add_co_ci_u32_e32 v4, vcc_lo, v4, v9, vcc_lo
	v_mul_hi_u32 v5, s0, v3
	v_mul_lo_u32 v12, s26, v3
	v_mul_lo_u32 v9, s0, v4
	v_add_nc_u32_e32 v5, v5, v9
	v_mul_lo_u32 v9, s0, v3
	v_add_nc_u32_e32 v5, v5, v12
	v_mul_hi_u32 v12, v3, v9
	v_mul_lo_u32 v13, v3, v5
	v_mul_hi_u32 v14, v3, v5
	v_mul_hi_u32 v15, v4, v9
	v_mul_lo_u32 v9, v4, v9
	v_mul_hi_u32 v16, v4, v5
	v_mul_lo_u32 v5, v4, v5
	v_add_co_u32 v12, vcc_lo, v12, v13
	v_add_co_ci_u32_e32 v13, vcc_lo, 0, v14, vcc_lo
	v_add_co_u32 v9, vcc_lo, v12, v9
	v_add_co_ci_u32_e32 v9, vcc_lo, v13, v15, vcc_lo
	v_add_co_ci_u32_e32 v12, vcc_lo, 0, v16, vcc_lo
	v_add_co_u32 v5, vcc_lo, v9, v5
	v_add_co_ci_u32_e32 v9, vcc_lo, 0, v12, vcc_lo
	v_add_co_u32 v5, vcc_lo, v3, v5
	v_add_co_ci_u32_e32 v9, vcc_lo, v4, v9, vcc_lo
	v_mul_hi_u32 v16, v10, v5
	v_mad_u64_u32 v[12:13], null, v11, v5, 0
	v_mad_u64_u32 v[3:4], null, v10, v9, 0
	;; [unrolled: 1-line block ×3, first 2 shown]
	v_add_co_u32 v3, vcc_lo, v16, v3
	v_add_co_ci_u32_e32 v4, vcc_lo, 0, v4, vcc_lo
	v_add_co_u32 v3, vcc_lo, v3, v12
	v_add_co_ci_u32_e32 v3, vcc_lo, v4, v13, vcc_lo
	v_add_co_ci_u32_e32 v4, vcc_lo, 0, v15, vcc_lo
	v_add_co_u32 v5, vcc_lo, v3, v14
	v_add_co_ci_u32_e32 v9, vcc_lo, 0, v4, vcc_lo
	v_mul_lo_u32 v12, s25, v5
	v_mad_u64_u32 v[3:4], null, s24, v5, 0
	v_mul_lo_u32 v13, s24, v9
	v_sub_co_u32 v3, vcc_lo, v10, v3
	v_add3_u32 v4, v4, v13, v12
	v_sub_nc_u32_e32 v12, v11, v4
	v_subrev_co_ci_u32_e64 v12, s0, s25, v12, vcc_lo
	v_add_co_u32 v13, s0, v5, 2
	v_add_co_ci_u32_e64 v14, s0, 0, v9, s0
	v_sub_co_u32 v15, s0, v3, s24
	v_sub_co_ci_u32_e32 v4, vcc_lo, v11, v4, vcc_lo
	v_subrev_co_ci_u32_e64 v12, s0, 0, v12, s0
	v_cmp_le_u32_e32 vcc_lo, s24, v15
	v_cmp_eq_u32_e64 s0, s25, v4
	v_cndmask_b32_e64 v15, 0, -1, vcc_lo
	v_cmp_le_u32_e32 vcc_lo, s25, v12
	v_cndmask_b32_e64 v16, 0, -1, vcc_lo
	v_cmp_le_u32_e32 vcc_lo, s24, v3
	;; [unrolled: 2-line block ×3, first 2 shown]
	v_cndmask_b32_e64 v17, 0, -1, vcc_lo
	v_cmp_eq_u32_e32 vcc_lo, s25, v12
	v_cndmask_b32_e64 v3, v17, v3, s0
	v_cndmask_b32_e32 v12, v16, v15, vcc_lo
	v_add_co_u32 v15, vcc_lo, v5, 1
	v_add_co_ci_u32_e32 v16, vcc_lo, 0, v9, vcc_lo
	v_cmp_ne_u32_e32 vcc_lo, 0, v12
	v_cndmask_b32_e32 v4, v16, v14, vcc_lo
	v_cndmask_b32_e32 v12, v15, v13, vcc_lo
	v_cmp_ne_u32_e32 vcc_lo, 0, v3
	v_cndmask_b32_e32 v4, v9, v4, vcc_lo
	v_cndmask_b32_e32 v3, v5, v12, vcc_lo
.LBB0_4:                                ;   in Loop: Header=BB0_2 Depth=1
	s_andn2_saveexec_b32 s0, s1
	s_cbranch_execz .LBB0_6
; %bb.5:                                ;   in Loop: Header=BB0_2 Depth=1
	v_cvt_f32_u32_e32 v3, s24
	s_sub_i32 s1, 0, s24
	v_rcp_iflag_f32_e32 v3, v3
	v_mul_f32_e32 v3, 0x4f7ffffe, v3
	v_cvt_u32_f32_e32 v3, v3
	v_mul_lo_u32 v4, s1, v3
	v_mul_hi_u32 v4, v3, v4
	v_add_nc_u32_e32 v3, v3, v4
	v_mul_hi_u32 v3, v10, v3
	v_mul_lo_u32 v4, v3, s24
	v_add_nc_u32_e32 v5, 1, v3
	v_sub_nc_u32_e32 v4, v10, v4
	v_subrev_nc_u32_e32 v9, s24, v4
	v_cmp_le_u32_e32 vcc_lo, s24, v4
	v_cndmask_b32_e32 v4, v4, v9, vcc_lo
	v_cndmask_b32_e32 v3, v3, v5, vcc_lo
	v_cmp_le_u32_e32 vcc_lo, s24, v4
	v_add_nc_u32_e32 v5, 1, v3
	v_mov_b32_e32 v4, v8
	v_cndmask_b32_e32 v3, v3, v5, vcc_lo
.LBB0_6:                                ;   in Loop: Header=BB0_2 Depth=1
	s_or_b32 exec_lo, exec_lo, s0
	v_mul_lo_u32 v5, v4, s24
	v_mul_lo_u32 v9, v3, s25
	s_load_dwordx2 s[0:1], s[6:7], 0x0
	v_mad_u64_u32 v[12:13], null, v3, s24, 0
	s_load_dwordx2 s[24:25], s[2:3], 0x0
	s_add_u32 s22, s22, 1
	s_addc_u32 s23, s23, 0
	s_add_u32 s2, s2, 8
	s_addc_u32 s3, s3, 0
	s_add_u32 s6, s6, 8
	v_add3_u32 v5, v13, v9, v5
	v_sub_co_u32 v9, vcc_lo, v10, v12
	s_addc_u32 s7, s7, 0
	s_add_u32 s20, s20, 8
	v_sub_co_ci_u32_e32 v5, vcc_lo, v11, v5, vcc_lo
	s_addc_u32 s21, s21, 0
	s_waitcnt lgkmcnt(0)
	v_mul_lo_u32 v10, s0, v5
	v_mul_lo_u32 v11, s1, v9
	v_mad_u64_u32 v[6:7], null, s0, v9, v[6:7]
	v_mul_lo_u32 v5, s24, v5
	v_mul_lo_u32 v12, s25, v9
	v_mad_u64_u32 v[1:2], null, s24, v9, v[1:2]
	v_cmp_ge_u64_e64 s0, s[22:23], s[14:15]
	v_add3_u32 v7, v11, v7, v10
	v_add3_u32 v2, v12, v2, v5
	s_and_b32 vcc_lo, exec_lo, s0
	s_cbranch_vccnz .LBB0_9
; %bb.7:                                ;   in Loop: Header=BB0_2 Depth=1
	v_mov_b32_e32 v11, v4
	v_mov_b32_e32 v10, v3
	s_branch .LBB0_2
.LBB0_8:
	v_mov_b32_e32 v1, v6
	v_mov_b32_e32 v3, v10
	;; [unrolled: 1-line block ×4, first 2 shown]
.LBB0_9:
	s_load_dwordx2 s[0:1], s[4:5], 0x28
	v_mul_hi_u32 v8, 0x11bb4a5, v0
	s_lshl_b64 s[4:5], s[14:15], 3
                                        ; implicit-def: $vgpr5
	s_add_u32 s2, s18, s4
	s_addc_u32 s3, s19, s5
	s_waitcnt lgkmcnt(0)
	v_cmp_gt_u64_e32 vcc_lo, s[0:1], v[3:4]
	v_cmp_le_u64_e64 s0, s[0:1], v[3:4]
	s_and_saveexec_b32 s1, s0
	s_xor_b32 s0, exec_lo, s1
; %bb.10:
	v_mul_u32_u24_e32 v5, 0xe7, v8
                                        ; implicit-def: $vgpr8
                                        ; implicit-def: $vgpr6_vgpr7
	v_sub_nc_u32_e32 v5, v0, v5
                                        ; implicit-def: $vgpr0
; %bb.11:
	s_or_saveexec_b32 s1, s0
	s_load_dwordx2 s[2:3], s[2:3], 0x0
                                        ; implicit-def: $vgpr11
                                        ; implicit-def: $vgpr31
                                        ; implicit-def: $vgpr23
                                        ; implicit-def: $vgpr13
                                        ; implicit-def: $vgpr27
                                        ; implicit-def: $vgpr25
                                        ; implicit-def: $vgpr15
                                        ; implicit-def: $vgpr35
                                        ; implicit-def: $vgpr33
	s_xor_b32 exec_lo, exec_lo, s1
	s_cbranch_execz .LBB0_15
; %bb.12:
	s_add_u32 s4, s16, s4
	s_addc_u32 s5, s17, s5
	v_lshlrev_b64 v[6:7], 3, v[6:7]
	s_load_dwordx2 s[4:5], s[4:5], 0x0
                                        ; implicit-def: $vgpr32
                                        ; implicit-def: $vgpr34
	s_waitcnt lgkmcnt(0)
	v_mul_lo_u32 v5, s5, v3
	v_mul_lo_u32 v11, s4, v4
	v_mad_u64_u32 v[9:10], null, s4, v3, 0
	s_mov_b32 s4, exec_lo
	v_add3_u32 v10, v10, v11, v5
	v_mul_u32_u24_e32 v5, 0xe7, v8
	v_lshlrev_b64 v[8:9], 3, v[9:10]
	v_sub_nc_u32_e32 v5, v0, v5
	v_add_co_u32 v0, s0, s8, v8
	v_add_co_ci_u32_e64 v8, s0, s9, v9, s0
	v_lshlrev_b32_e32 v9, 3, v5
	v_add_co_u32 v0, s0, v0, v6
	v_add_co_ci_u32_e64 v7, s0, v8, v7, s0
	v_add_co_u32 v6, s0, v0, v9
	v_add_co_ci_u32_e64 v7, s0, 0, v7, s0
	;; [unrolled: 2-line block ×6, first 2 shown]
	s_clause 0x5
	global_load_dwordx2 v[10:11], v[6:7], off
	global_load_dwordx2 v[22:23], v[8:9], off offset:1664
	global_load_dwordx2 v[30:31], v[12:13], off offset:832
	;; [unrolled: 1-line block ×5, first 2 shown]
                                        ; implicit-def: $vgpr14
	v_cmpx_gt_u32_e32 0x9a, v5
; %bb.13:
	v_add_co_u32 v14, s0, 0x3000, v6
	v_add_co_ci_u32_e64 v15, s0, 0, v7, s0
	v_add_co_u32 v6, s0, 0x800, v6
	v_add_co_ci_u32_e64 v7, s0, 0, v7, s0
	s_clause 0x2
	global_load_dwordx2 v[32:33], v[14:15], off offset:1264
	global_load_dwordx2 v[14:15], v[6:7], off offset:1648
	;; [unrolled: 1-line block ×3, first 2 shown]
; %bb.14:
	s_or_b32 exec_lo, exec_lo, s4
.LBB0_15:
	s_or_b32 exec_lo, exec_lo, s1
	s_waitcnt vmcnt(3)
	v_add_f32_e32 v0, v30, v22
	v_add_f32_e32 v6, v10, v30
	v_sub_f32_e32 v7, v31, v23
	s_waitcnt vmcnt(0)
	v_add_f32_e32 v9, v26, v24
	v_add_f32_e32 v16, v34, v32
	v_fmac_f32_e32 v10, -0.5, v0
	v_add_f32_e32 v0, v12, v26
	v_add_f32_e32 v8, v6, v22
	v_fmac_f32_e32 v12, -0.5, v9
	v_sub_f32_e32 v6, v27, v25
	v_fmamk_f32 v9, v7, 0xbf5db3d7, v10
	v_fmac_f32_e32 v10, 0x3f5db3d7, v7
	v_add_f32_e32 v17, v0, v24
	v_add_f32_e32 v0, v14, v34
	v_fmac_f32_e32 v14, -0.5, v16
	v_sub_f32_e32 v7, v35, v33
	v_mad_u32_u24 v36, v5, 12, 0
	v_fmamk_f32 v18, v6, 0xbf5db3d7, v12
	v_fmac_f32_e32 v12, 0x3f5db3d7, v6
	v_add_f32_e32 v20, v0, v32
	v_fmamk_f32 v21, v7, 0xbf5db3d7, v14
	v_fmac_f32_e32 v14, 0x3f5db3d7, v7
	v_add_nc_u32_e32 v39, 0xad4, v36
	v_cmp_gt_u32_e64 s1, 0x9a, v5
	v_add_nc_u32_e32 v38, 0x15a8, v36
	ds_write2_b32 v36, v8, v9 offset1:1
	ds_write_b32 v36, v10 offset:8
	ds_write2_b32 v39, v17, v18 offset1:1
	ds_write_b32 v36, v12 offset:2780
	s_and_saveexec_b32 s0, s1
	s_cbranch_execz .LBB0_17
; %bb.16:
	ds_write2_b32 v38, v20, v21 offset1:1
	ds_write_b32 v36, v14 offset:5552
.LBB0_17:
	s_or_b32 exec_lo, exec_lo, s0
	v_cmp_gt_u32_e64 s0, 0xa8, v5
	v_lshlrev_b32_e32 v37, 3, v5
	s_waitcnt lgkmcnt(0)
	s_barrier
	buffer_gl0_inv
                                        ; implicit-def: $vgpr29
                                        ; implicit-def: $vgpr0
	s_and_saveexec_b32 s4, s0
	s_cbranch_execz .LBB0_19
; %bb.18:
	v_sub_nc_u32_e32 v0, v36, v37
	v_add_nc_u32_e32 v6, 0x400, v0
	v_add_nc_u32_e32 v7, 0xa00, v0
	;; [unrolled: 1-line block ×4, first 2 shown]
	ds_read2_b32 v[16:17], v6 offset0:80 offset1:248
	ds_read2_b32 v[18:19], v7 offset0:32 offset1:200
	;; [unrolled: 1-line block ×3, first 2 shown]
	ds_read2_b32 v[8:9], v0 offset1:168
	ds_read_b32 v0, v0 offset:6720
	ds_read2_b32 v[20:21], v10 offset0:48 offset1:216
	s_waitcnt lgkmcnt(5)
	v_mov_b32_e32 v10, v16
	s_waitcnt lgkmcnt(4)
	v_mov_b32_e32 v12, v19
	;; [unrolled: 2-line block ×3, first 2 shown]
.LBB0_19:
	s_or_b32 exec_lo, exec_lo, s4
	v_add_f32_e32 v6, v31, v23
	v_add_f32_e32 v7, v11, v31
	v_sub_f32_e32 v16, v30, v22
	v_add_f32_e32 v19, v27, v25
	v_add_f32_e32 v22, v13, v27
	v_fmac_f32_e32 v11, -0.5, v6
	v_add_f32_e32 v27, v35, v33
	v_add_f32_e32 v6, v7, v23
	v_fmac_f32_e32 v13, -0.5, v19
	v_add_f32_e32 v19, v15, v35
	v_fmamk_f32 v7, v16, 0x3f5db3d7, v11
	v_fmac_f32_e32 v11, 0xbf5db3d7, v16
	v_sub_f32_e32 v16, v26, v24
	v_fmac_f32_e32 v15, -0.5, v27
	v_sub_f32_e32 v26, v34, v32
	v_add_f32_e32 v27, v22, v25
	v_add_f32_e32 v22, v19, v33
	v_fmamk_f32 v24, v16, 0x3f5db3d7, v13
	v_fmac_f32_e32 v13, 0xbf5db3d7, v16
	v_fmamk_f32 v23, v26, 0x3f5db3d7, v15
	v_fmac_f32_e32 v15, 0xbf5db3d7, v26
	s_waitcnt lgkmcnt(0)
	s_barrier
	buffer_gl0_inv
	ds_write2_b32 v36, v6, v7 offset1:1
	ds_write_b32 v36, v11 offset:8
	ds_write2_b32 v39, v27, v24 offset1:1
	ds_write_b32 v36, v13 offset:2780
	s_and_saveexec_b32 s4, s1
	s_cbranch_execz .LBB0_21
; %bb.20:
	ds_write2_b32 v38, v22, v23 offset1:1
	ds_write_b32 v36, v15 offset:5552
.LBB0_21:
	s_or_b32 exec_lo, exec_lo, s4
	s_waitcnt lgkmcnt(0)
	s_barrier
	buffer_gl0_inv
                                        ; implicit-def: $vgpr16
                                        ; implicit-def: $vgpr31
	s_and_saveexec_b32 s1, s0
	s_cbranch_execz .LBB0_23
; %bb.22:
	v_sub_nc_u32_e32 v11, v36, v37
	v_add_nc_u32_e32 v6, 0x1400, v11
	v_add_nc_u32_e32 v7, 0xa00, v11
	;; [unrolled: 1-line block ×4, first 2 shown]
	ds_read2_b32 v[15:16], v6 offset0:64 offset1:232
	ds_read2_b32 v[24:25], v7 offset0:32 offset1:200
	;; [unrolled: 1-line block ×3, first 2 shown]
	ds_read2_b32 v[6:7], v11 offset1:168
	ds_read_b32 v31, v11 offset:6720
	ds_read2_b32 v[22:23], v19 offset0:48 offset1:216
	s_waitcnt lgkmcnt(4)
	v_mov_b32_e32 v13, v25
	s_waitcnt lgkmcnt(3)
	v_mov_b32_e32 v11, v26
.LBB0_23:
	s_or_b32 exec_lo, exec_lo, s1
	v_and_b32_e32 v19, 0xff, v5
	v_mov_b32_e32 v28, 10
	v_mul_lo_u16 v25, 0xab, v19
	v_lshrrev_b16 v25, 9, v25
	v_mul_lo_u16 v26, v25, 3
	v_sub_nc_u16 v26, v5, v26
	v_mul_u32_u24_sdwa v28, v26, v28 dst_sel:DWORD dst_unused:UNUSED_PAD src0_sel:BYTE_0 src1_sel:DWORD
	v_lshlrev_b32_e32 v28, 3, v28
	s_clause 0x4
	global_load_dwordx4 v[32:35], v28, s[12:13]
	global_load_dwordx4 v[45:48], v28, s[12:13] offset:16
	global_load_dwordx4 v[49:52], v28, s[12:13] offset:32
	;; [unrolled: 1-line block ×4, first 2 shown]
	s_waitcnt vmcnt(0) lgkmcnt(0)
	s_barrier
	buffer_gl0_inv
	v_mul_f32_e32 v42, v7, v33
	v_mul_f32_e32 v33, v9, v33
	v_mul_f32_e32 v39, v27, v46
	v_mul_f32_e32 v41, v11, v35
	v_mul_f32_e32 v30, v10, v35
	v_mul_f32_e32 v28, v17, v46
	v_mul_f32_e32 v37, v24, v48
	v_mul_f32_e32 v46, v18, v48
	v_mul_f32_e32 v35, v13, v50
	v_mul_f32_e32 v48, v12, v50
	v_mul_f32_e32 v36, v22, v52
	v_mul_f32_e32 v50, v20, v52
	v_mul_f32_e32 v38, v23, v54
	v_mul_f32_e32 v52, v21, v54
	v_mul_f32_e32 v40, v15, v56
	v_mul_f32_e32 v54, v14, v56
	v_mul_f32_e32 v43, v16, v58
	v_mul_f32_e32 v56, v29, v58
	v_mul_f32_e32 v58, v0, v60
	v_mul_f32_e32 v44, v31, v60
	v_fmac_f32_e32 v41, v10, v34
	v_fma_f32 v30, v11, v34, -v30
	v_fma_f32 v34, v7, v32, -v33
	v_fmac_f32_e32 v35, v12, v49
	v_fma_f32 v12, v31, v59, -v58
	v_fma_f32 v28, v27, v45, -v28
	v_fmac_f32_e32 v42, v9, v32
	v_fma_f32 v27, v13, v49, -v48
	v_fmac_f32_e32 v44, v0, v59
	v_fma_f32 v13, v16, v57, -v56
	v_sub_f32_e32 v49, v34, v12
	v_fmac_f32_e32 v39, v17, v45
	v_fmac_f32_e32 v37, v18, v47
	v_fma_f32 v24, v24, v47, -v46
	v_fma_f32 v17, v23, v53, -v52
	v_fmac_f32_e32 v43, v29, v57
	v_fma_f32 v16, v15, v55, -v54
	v_add_f32_e32 v0, v42, v44
	v_sub_f32_e32 v52, v30, v13
	v_mul_f32_e32 v31, 0xbf0a6770, v49
	v_mul_f32_e32 v47, 0xbf68dda4, v49
	;; [unrolled: 1-line block ×4, first 2 shown]
	v_fmac_f32_e32 v36, v20, v51
	v_fma_f32 v22, v22, v51, -v50
	v_fmac_f32_e32 v40, v14, v55
	v_add_f32_e32 v18, v41, v43
	v_sub_f32_e32 v51, v28, v16
	v_mul_f32_e32 v23, 0xbf68dda4, v52
	v_mul_f32_e32 v46, 0xbf4178ce, v52
	;; [unrolled: 1-line block ×4, first 2 shown]
	v_fma_f32 v7, 0x3f575c64, v0, -v31
	v_fma_f32 v9, 0x3ed4b147, v0, -v47
	;; [unrolled: 1-line block ×4, first 2 shown]
	v_fmac_f32_e32 v38, v21, v53
	v_add_f32_e32 v32, v39, v40
	v_sub_f32_e32 v55, v24, v17
	v_mul_f32_e32 v21, 0xbf7d64f0, v51
	v_mul_f32_e32 v33, 0x3e903f40, v51
	;; [unrolled: 1-line block ×4, first 2 shown]
	v_fma_f32 v64, 0x3ed4b147, v18, -v23
	v_fma_f32 v65, 0xbf27a4f4, v18, -v46
	;; [unrolled: 1-line block ×4, first 2 shown]
	v_add_f32_e32 v7, v8, v7
	v_add_f32_e32 v9, v8, v9
	;; [unrolled: 1-line block ×5, first 2 shown]
	v_sub_f32_e32 v61, v27, v22
	v_mul_f32_e32 v20, 0xbf4178ce, v55
	v_mul_f32_e32 v29, 0x3f7d64f0, v55
	;; [unrolled: 1-line block ×4, first 2 shown]
	v_fma_f32 v68, 0xbe11bafb, v32, -v21
	v_fma_f32 v69, 0xbf75a155, v32, -v33
	;; [unrolled: 1-line block ×4, first 2 shown]
	v_add_f32_e32 v7, v64, v7
	v_add_f32_e32 v9, v65, v9
	;; [unrolled: 1-line block ×5, first 2 shown]
	v_mul_f32_e32 v15, 0xbe903f40, v61
	v_mul_f32_e32 v14, 0x3f0a6770, v61
	;; [unrolled: 1-line block ×4, first 2 shown]
	v_fma_f32 v72, 0xbf27a4f4, v45, -v20
	v_fma_f32 v73, 0xbe11bafb, v45, -v29
	;; [unrolled: 1-line block ×4, first 2 shown]
	v_add_f32_e32 v7, v68, v7
	v_add_f32_e32 v9, v69, v9
	;; [unrolled: 1-line block ×4, first 2 shown]
	v_fma_f32 v76, 0xbf75a155, v58, -v15
	v_fma_f32 v77, 0x3f575c64, v58, -v14
	;; [unrolled: 1-line block ×4, first 2 shown]
	v_add_f32_e32 v7, v72, v7
	v_add_f32_e32 v66, v73, v9
	;; [unrolled: 1-line block ×8, first 2 shown]
	s_and_saveexec_b32 s1, s0
	s_cbranch_execz .LBB0_25
; %bb.24:
	v_mul_f32_e32 v49, 0xbe903f40, v49
	v_mul_f32_e32 v52, 0x3f0a6770, v52
	;; [unrolled: 1-line block ×5, first 2 shown]
	v_fma_f32 v80, 0xbf75a155, v0, -v49
	v_mul_f32_e32 v67, 0xbf27a4f4, v0
	v_fmac_f32_e32 v49, 0xbf75a155, v0
	v_mul_f32_e32 v51, 0xbf4178ce, v51
	v_mul_f32_e32 v68, 0x3ed4b147, v18
	v_add_f32_e32 v0, v8, v80
	v_fma_f32 v80, 0x3f575c64, v18, -v52
	v_mul_f32_e32 v69, 0xbf27a4f4, v18
	v_mul_f32_e32 v70, 0xbf75a155, v18
	;; [unrolled: 1-line block ×3, first 2 shown]
	v_add_f32_e32 v49, v8, v49
	v_fmac_f32_e32 v52, 0x3f575c64, v18
	v_add_f32_e32 v0, v80, v0
	v_fma_f32 v18, 0xbf27a4f4, v32, -v51
	v_mul_f32_e32 v55, 0x3f68dda4, v55
	v_fmac_f32_e32 v51, 0xbf27a4f4, v32
	v_add_f32_e32 v49, v52, v49
	v_mul_f32_e32 v72, 0xbe11bafb, v32
	v_add_f32_e32 v0, v18, v0
	v_add_f32_e32 v18, v67, v63
	v_mul_f32_e32 v73, 0xbf75a155, v32
	v_mul_f32_e32 v74, 0x3ed4b147, v32
	;; [unrolled: 1-line block ×7, first 2 shown]
	v_fma_f32 v32, 0x3ed4b147, v45, -v55
	v_add_f32_e32 v49, v51, v49
	v_fmac_f32_e32 v55, 0x3ed4b147, v45
	v_add_f32_e32 v18, v8, v18
	v_add_f32_e32 v45, v71, v62
	;; [unrolled: 1-line block ×16, first 2 shown]
	v_mul_f32_e32 v52, 0xbf7d64f0, v61
	v_add_f32_e32 v23, v68, v23
	v_add_f32_e32 v18, v45, v18
	;; [unrolled: 1-line block ×5, first 2 shown]
	v_fma_f32 v32, 0xbe11bafb, v58, -v52
	v_fmac_f32_e32 v52, 0xbe11bafb, v58
	v_add_f32_e32 v45, v45, v37
	v_add_f32_e32 v54, v70, v54
	;; [unrolled: 1-line block ×12, first 2 shown]
	v_mul_f32_e32 v81, 0xbf75a155, v58
	v_add_f32_e32 v8, v21, v8
	v_add_f32_e32 v20, v76, v20
	v_add_f32_e32 v31, v31, v38
	v_add_f32_e32 v21, v29, v23
	v_mov_b32_e32 v29, 0x84
	v_mul_f32_e32 v82, 0x3f575c64, v58
	v_mul_f32_e32 v83, 0xbf27a4f4, v58
	v_add_f32_e32 v23, v31, v40
	v_mov_b32_e32 v31, 2
	v_add_f32_e32 v51, v52, v51
	v_add_f32_e32 v50, v78, v50
	v_mul_f32_e32 v80, 0x3ed4b147, v58
	v_add_f32_e32 v8, v20, v8
	v_add_f32_e32 v15, v81, v15
	;; [unrolled: 1-line block ×3, first 2 shown]
	v_mul_u32_u24_sdwa v23, v25, v29 dst_sel:DWORD dst_unused:UNUSED_PAD src0_sel:WORD_0 src1_sel:DWORD
	v_lshlrev_b32_sdwa v29, v31, v26 dst_sel:DWORD dst_unused:UNUSED_PAD src0_sel:DWORD src1_sel:BYTE_0
	v_add_f32_e32 v46, v50, v51
	v_add_f32_e32 v33, v83, v48
	v_add_f32_e32 v14, v82, v14
	v_add_f32_e32 v53, v80, v57
	v_add_f32_e32 v8, v15, v8
	v_add_f32_e32 v15, v20, v44
	v_add3_u32 v20, 0, v23, v29
	v_add_f32_e32 v31, v33, v46
	v_add_f32_e32 v14, v14, v21
	;; [unrolled: 1-line block ×4, first 2 shown]
	ds_write2_b32 v20, v15, v8 offset1:3
	ds_write2_b32 v20, v14, v31 offset0:6 offset1:9
	ds_write2_b32 v20, v18, v49 offset0:12 offset1:15
	;; [unrolled: 1-line block ×4, first 2 shown]
	ds_write_b32 v20, v9 offset:120
.LBB0_25:
	s_or_b32 exec_lo, exec_lo, s1
	v_lshl_add_u32 v0, v5, 2, 0
	s_waitcnt lgkmcnt(0)
	s_barrier
	buffer_gl0_inv
	v_cmp_gt_u32_e64 s1, 33, v5
	ds_read_b32 v8, v0
	ds_read_b32 v33, v0 offset:1056
	ds_read_b32 v32, v0 offset:2112
	;; [unrolled: 1-line block ×6, first 2 shown]
                                        ; implicit-def: $vgpr18
                                        ; implicit-def: $vgpr15
                                        ; implicit-def: $vgpr20
	s_and_saveexec_b32 s4, s1
	s_cbranch_execz .LBB0_27
; %bb.26:
	ds_read_b32 v7, v0 offset:924
	ds_read_b32 v11, v0 offset:1980
	;; [unrolled: 1-line block ×7, first 2 shown]
.LBB0_27:
	s_or_b32 exec_lo, exec_lo, s4
	v_add_f32_e32 v49, v34, v12
	v_sub_f32_e32 v44, v42, v44
	v_add_f32_e32 v50, v30, v13
	v_sub_f32_e32 v42, v41, v43
	v_add_f32_e32 v41, v28, v16
	v_mul_f32_e32 v65, 0x3f575c64, v49
	v_mul_f32_e32 v66, 0x3ed4b147, v49
	;; [unrolled: 1-line block ×5, first 2 shown]
	v_fmamk_f32 v14, v44, 0xbf0a6770, v65
	v_fmamk_f32 v43, v44, 0xbf68dda4, v66
	;; [unrolled: 1-line block ×5, first 2 shown]
	v_add_f32_e32 v14, v6, v14
	v_mul_f32_e32 v67, 0xbf27a4f4, v50
	v_mul_f32_e32 v60, 0xbf75a155, v50
	;; [unrolled: 1-line block ×3, first 2 shown]
	v_add_f32_e32 v43, v6, v43
	v_add_f32_e32 v45, v6, v45
	;; [unrolled: 1-line block ×4, first 2 shown]
	v_fmamk_f32 v47, v42, 0xbf4178ce, v67
	v_sub_f32_e32 v40, v39, v40
	v_mul_f32_e32 v52, 0xbe11bafb, v41
	v_fmamk_f32 v39, v42, 0x3e903f40, v60
	v_fmamk_f32 v51, v42, 0x3f7d64f0, v61
	v_mul_f32_e32 v48, 0xbf75a155, v41
	v_add_f32_e32 v43, v47, v43
	v_fmamk_f32 v47, v40, 0xbf7d64f0, v52
	v_add_f32_e32 v39, v39, v45
	v_add_f32_e32 v46, v51, v46
	v_fmamk_f32 v51, v40, 0x3e903f40, v48
	v_mul_f32_e32 v53, 0x3ed4b147, v41
	v_add_f32_e32 v45, v24, v17
	v_add_f32_e32 v14, v47, v14
	v_mul_f32_e32 v62, 0x3f575c64, v41
	v_add_f32_e32 v47, v51, v43
	v_fmamk_f32 v55, v40, 0x3f68dda4, v53
	v_sub_f32_e32 v43, v37, v38
	v_mul_f32_e32 v54, 0xbf27a4f4, v45
	v_fmamk_f32 v37, v40, 0xbf0a6770, v62
	v_mul_f32_e32 v56, 0xbe11bafb, v45
	v_mul_f32_e32 v51, 0x3f575c64, v45
	v_add_f32_e32 v38, v55, v39
	v_fmamk_f32 v39, v43, 0xbf4178ce, v54
	v_add_f32_e32 v37, v37, v46
	v_fmamk_f32 v46, v43, 0x3f7d64f0, v56
	v_fmamk_f32 v57, v43, 0xbf0a6770, v51
	v_mul_f32_e32 v55, 0xbf75a155, v45
	v_add_f32_e32 v14, v39, v14
	v_add_f32_e32 v39, v27, v22
	v_add_f32_e32 v68, v46, v47
	v_add_f32_e32 v69, v57, v38
	v_fmamk_f32 v70, v43, 0xbe903f40, v55
	v_sub_f32_e32 v38, v35, v36
	v_mul_f32_e32 v58, 0xbf75a155, v39
	v_mul_f32_e32 v57, 0x3f575c64, v39
	;; [unrolled: 1-line block ×4, first 2 shown]
	v_add_f32_e32 v70, v70, v37
	v_fmamk_f32 v35, v38, 0xbe903f40, v58
	v_fmamk_f32 v36, v38, 0x3f0a6770, v57
	;; [unrolled: 1-line block ×4, first 2 shown]
	s_waitcnt lgkmcnt(0)
	v_add_f32_e32 v35, v35, v14
	v_add_f32_e32 v36, v36, v68
	;; [unrolled: 1-line block ×4, first 2 shown]
	s_barrier
	buffer_gl0_inv
	s_and_saveexec_b32 s4, s0
	s_cbranch_execz .LBB0_29
; %bb.28:
	v_add_f32_e32 v34, v6, v34
	v_mul_f32_e32 v68, 0xbf0a6770, v44
	v_mul_f32_e32 v69, 0xbf68dda4, v44
	v_mul_f32_e32 v70, 0xbf7d64f0, v44
	v_mul_f32_e32 v71, 0xbf4178ce, v44
	v_add_f32_e32 v30, v34, v30
	v_mul_f32_e32 v34, 0xbf68dda4, v42
	v_mul_f32_e32 v73, 0x3e903f40, v42
	v_mul_f32_e32 v74, 0x3f7d64f0, v42
	v_mul_f32_e32 v72, 0xbf4178ce, v42
	;; [unrolled: 5-line block ×5, first 2 shown]
	v_add_f32_e32 v22, v24, v22
	v_mul_f32_e32 v24, 0xbf75a155, v49
	v_mul_f32_e32 v49, 0x3f575c64, v50
	v_sub_f32_e32 v50, v65, v68
	v_sub_f32_e32 v65, v66, v69
	v_add_f32_e32 v17, v22, v17
	v_sub_f32_e32 v22, v63, v70
	v_sub_f32_e32 v63, v64, v71
	v_fmamk_f32 v64, v44, 0x3e903f40, v24
	v_fmac_f32_e32 v24, 0xbe903f40, v44
	v_add_f32_e32 v16, v17, v16
	v_sub_f32_e32 v17, v59, v34
	v_add_f32_e32 v44, v6, v50
	v_add_f32_e32 v50, v6, v65
	;; [unrolled: 1-line block ×7, first 2 shown]
	v_sub_f32_e32 v24, v61, v74
	v_add_f32_e32 v12, v13, v12
	v_add_f32_e32 v13, v17, v44
	v_sub_f32_e32 v17, v60, v73
	v_sub_f32_e32 v34, v67, v72
	v_fmamk_f32 v44, v42, 0xbf0a6770, v49
	v_fmac_f32_e32 v49, 0x3f0a6770, v42
	v_sub_f32_e32 v27, v58, v27
	v_add_f32_e32 v16, v17, v16
	v_add_f32_e32 v17, v24, v22
	v_sub_f32_e32 v24, v52, v30
	v_mul_f32_e32 v30, 0xbf27a4f4, v41
	v_add_f32_e32 v34, v34, v50
	v_sub_f32_e32 v41, v48, v75
	v_add_f32_e32 v22, v44, v59
	v_add_f32_e32 v13, v24, v13
	v_sub_f32_e32 v24, v62, v77
	v_add_f32_e32 v6, v49, v6
	v_fmamk_f32 v44, v40, 0x3f4178ce, v30
	v_fmac_f32_e32 v30, 0xbf4178ce, v40
	v_add_f32_e32 v34, v41, v34
	v_add_f32_e32 v17, v24, v17
	v_sub_f32_e32 v24, v54, v28
	v_sub_f32_e32 v28, v56, v78
	v_add_f32_e32 v6, v30, v6
	v_mul_f32_e32 v30, 0x3ed4b147, v45
	v_sub_f32_e32 v42, v53, v76
	v_add_f32_e32 v13, v24, v13
	v_add_f32_e32 v24, v28, v34
	v_sub_f32_e32 v28, v55, v80
	v_fmamk_f32 v34, v43, 0xbf68dda4, v30
	v_fmac_f32_e32 v30, 0x3f68dda4, v43
	v_add_f32_e32 v13, v27, v13
	v_mov_b32_e32 v27, 0x84
	v_add_f32_e32 v17, v28, v17
	v_sub_f32_e32 v28, v57, v81
	v_add_f32_e32 v6, v30, v6
	v_mov_b32_e32 v30, 2
	v_add_f32_e32 v16, v42, v16
	v_add_f32_e32 v22, v44, v22
	v_sub_f32_e32 v40, v51, v79
	v_add_f32_e32 v24, v28, v24
	v_mul_f32_e32 v28, 0xbe11bafb, v39
	v_mul_u32_u24_sdwa v25, v25, v27 dst_sel:DWORD dst_unused:UNUSED_PAD src0_sel:WORD_0 src1_sel:DWORD
	v_lshlrev_b32_sdwa v26, v30, v26 dst_sel:DWORD dst_unused:UNUSED_PAD src0_sel:DWORD src1_sel:BYTE_0
	v_add_f32_e32 v16, v40, v16
	v_add_f32_e32 v22, v34, v22
	v_sub_f32_e32 v34, v46, v82
	v_sub_f32_e32 v27, v47, v83
	v_fmamk_f32 v30, v38, 0x3f7d64f0, v28
	v_fmac_f32_e32 v28, 0xbf7d64f0, v38
	v_add3_u32 v25, 0, v25, v26
	v_add_f32_e32 v16, v34, v16
	v_add_f32_e32 v17, v27, v17
	;; [unrolled: 1-line block ×4, first 2 shown]
	ds_write2_b32 v25, v12, v13 offset1:3
	ds_write2_b32 v25, v24, v16 offset0:6 offset1:9
	ds_write2_b32 v25, v17, v22 offset0:12 offset1:15
	;; [unrolled: 1-line block ×4, first 2 shown]
	ds_write_b32 v25, v35 offset:120
.LBB0_29:
	s_or_b32 exec_lo, exec_lo, s4
	s_waitcnt lgkmcnt(0)
	s_barrier
	buffer_gl0_inv
	ds_read_b32 v6, v0
	ds_read_b32 v30, v0 offset:1056
	ds_read_b32 v28, v0 offset:2112
	;; [unrolled: 1-line block ×6, first 2 shown]
                                        ; implicit-def: $vgpr26
                                        ; implicit-def: $vgpr12
                                        ; implicit-def: $vgpr13
	s_and_saveexec_b32 s0, s1
	s_cbranch_execz .LBB0_31
; %bb.30:
	ds_read_b32 v14, v0 offset:924
	ds_read_b32 v37, v0 offset:1980
	ds_read_b32 v36, v0 offset:3036
	ds_read_b32 v35, v0 offset:4092
	ds_read_b32 v26, v0 offset:5148
	ds_read_b32 v13, v0 offset:6204
	ds_read_b32 v12, v0 offset:7260
.LBB0_31:
	s_or_b32 exec_lo, exec_lo, s0
	v_mul_lo_u16 v16, 0xf9, v19
	v_add_nc_u32_e32 v19, 0xe7, v5
	v_mov_b32_e32 v38, 0xf83f
	v_mov_b32_e32 v34, 6
	v_lshrrev_b16 v16, 13, v16
	v_mul_u32_u24_sdwa v38, v19, v38 dst_sel:DWORD dst_unused:UNUSED_PAD src0_sel:WORD_0 src1_sel:DWORD
	v_mul_lo_u16 v17, v16, 33
	v_lshrrev_b32_e32 v38, 21, v38
	v_sub_nc_u16 v17, v5, v17
	v_mul_lo_u16 v38, v38, 33
	v_mul_u32_u24_sdwa v34, v17, v34 dst_sel:DWORD dst_unused:UNUSED_PAD src0_sel:BYTE_0 src1_sel:DWORD
	v_sub_nc_u16 v19, v19, v38
	v_mov_b32_e32 v38, 2
	v_lshlrev_b32_e32 v34, 3, v34
	s_clause 0x1
	global_load_dwordx4 v[42:45], v34, s[12:13] offset:240
	global_load_dwordx4 v[46:49], v34, s[12:13] offset:256
	v_and_b32_e32 v19, 0xffff, v19
	global_load_dwordx4 v[50:53], v34, s[12:13] offset:272
	v_lshlrev_b32_sdwa v17, v38, v17 dst_sel:DWORD dst_unused:UNUSED_PAD src0_sel:DWORD src1_sel:BYTE_0
	v_mul_u32_u24_e32 v34, 6, v19
	v_lshlrev_b32_e32 v34, 3, v34
	s_clause 0x2
	global_load_dwordx4 v[54:57], v34, s[12:13] offset:240
	global_load_dwordx4 v[58:61], v34, s[12:13] offset:256
	;; [unrolled: 1-line block ×3, first 2 shown]
	v_mov_b32_e32 v34, 0x39c
	s_waitcnt vmcnt(0) lgkmcnt(0)
	s_barrier
	buffer_gl0_inv
	v_mul_u32_u24_sdwa v16, v16, v34 dst_sel:DWORD dst_unused:UNUSED_PAD src0_sel:WORD_0 src1_sel:DWORD
	v_add3_u32 v17, 0, v16, v17
	v_lshl_add_u32 v16, v19, 2, 0
	v_mul_f32_e32 v34, v30, v43
	v_mul_f32_e32 v19, v28, v45
	;; [unrolled: 1-line block ×11, first 2 shown]
	v_fmac_f32_e32 v34, v33, v42
	v_fmac_f32_e32 v19, v32, v44
	;; [unrolled: 1-line block ×4, first 2 shown]
	v_mul_f32_e32 v53, v21, v53
	v_fma_f32 v33, v30, v42, -v43
	v_fma_f32 v42, v28, v44, -v45
	v_fmac_f32_e32 v38, v31, v46
	v_fma_f32 v32, v27, v46, -v47
	v_fmac_f32_e32 v39, v29, v48
	v_fma_f32 v43, v25, v48, -v49
	v_fma_f32 v44, v24, v50, -v51
	v_mul_f32_e32 v23, v35, v59
	v_add_f32_e32 v49, v34, v41
	v_add_f32_e32 v51, v19, v40
	v_fma_f32 v45, v22, v52, -v53
	v_mul_f32_e32 v22, v37, v55
	v_mul_f32_e32 v28, v11, v55
	;; [unrolled: 1-line block ×4, first 2 shown]
	v_sub_f32_e32 v52, v42, v44
	v_add_f32_e32 v53, v38, v39
	v_sub_f32_e32 v55, v43, v32
	v_fmac_f32_e32 v23, v9, v58
	v_add_f32_e32 v9, v51, v49
	v_mul_f32_e32 v30, v10, v57
	v_sub_f32_e32 v50, v33, v45
	v_mul_f32_e32 v21, v36, v57
	v_mul_f32_e32 v46, v18, v61
	;; [unrolled: 1-line block ×3, first 2 shown]
	v_fmac_f32_e32 v22, v11, v54
	v_fma_f32 v29, v37, v54, -v28
	v_fma_f32 v28, v35, v58, -v31
	v_fmac_f32_e32 v24, v18, v60
	v_sub_f32_e32 v11, v49, v53
	v_sub_f32_e32 v18, v53, v51
	;; [unrolled: 1-line block ×3, first 2 shown]
	v_add_f32_e32 v9, v53, v9
	v_fma_f32 v30, v36, v56, -v30
	v_sub_f32_e32 v36, v52, v50
	v_mul_f32_e32 v47, v20, v63
	v_fmac_f32_e32 v21, v10, v56
	v_fmac_f32_e32 v25, v20, v62
	v_sub_f32_e32 v10, v51, v49
	v_add_f32_e32 v20, v55, v52
	v_sub_f32_e32 v35, v50, v55
	v_mul_f32_e32 v11, 0x3f4a47b2, v11
	v_mul_f32_e32 v37, 0x3d64c772, v18
	;; [unrolled: 1-line block ×3, first 2 shown]
	v_add_f32_e32 v8, v8, v9
	v_fma_f32 v26, v26, v60, -v46
	v_mul_f32_e32 v46, 0xbf5ff5aa, v36
	v_add_f32_e32 v20, v20, v50
	v_fmamk_f32 v18, v18, 0x3d64c772, v11
	v_fma_f32 v37, 0x3f3bfb3b, v10, -v37
	v_fmamk_f32 v49, v35, 0xbeae86e6, v31
	v_fma_f32 v31, 0xbf5ff5aa, v36, -v31
	;; [unrolled: 2-line block ×3, first 2 shown]
	v_fma_f32 v35, 0x3eae86e6, v35, -v46
	v_mul_f32_e32 v27, v12, v65
	v_mul_f32_e32 v48, v15, v65
	v_fmac_f32_e32 v49, 0xbee1c552, v20
	v_fmac_f32_e32 v31, 0xbee1c552, v20
	v_add_f32_e32 v11, v18, v9
	v_add_f32_e32 v10, v10, v9
	;; [unrolled: 1-line block ×3, first 2 shown]
	v_fmac_f32_e32 v35, 0xbee1c552, v20
	v_fma_f32 v20, v13, v62, -v47
	v_fmac_f32_e32 v27, v15, v64
	v_add_f32_e32 v13, v49, v11
	v_sub_f32_e32 v18, v9, v31
	v_add_f32_e32 v9, v31, v9
	v_fma_f32 v31, v12, v64, -v48
	v_add_f32_e32 v15, v35, v10
	v_sub_f32_e32 v10, v10, v35
	v_sub_f32_e32 v11, v11, v49
	ds_write2_b32 v17, v8, v13 offset1:33
	ds_write2_b32 v17, v15, v18 offset0:66 offset1:99
	ds_write2_b32 v17, v9, v10 offset0:132 offset1:165
	ds_write_b32 v17, v11 offset:792
	s_and_saveexec_b32 s0, s1
	s_cbranch_execz .LBB0_33
; %bb.32:
	v_add_f32_e32 v8, v22, v27
	v_add_f32_e32 v9, v21, v25
	;; [unrolled: 1-line block ×3, first 2 shown]
	v_sub_f32_e32 v12, v26, v28
	v_sub_f32_e32 v15, v30, v20
	;; [unrolled: 1-line block ×3, first 2 shown]
	v_add_f32_e32 v13, v9, v8
	v_sub_f32_e32 v18, v8, v10
	v_sub_f32_e32 v35, v10, v9
	;; [unrolled: 1-line block ×4, first 2 shown]
	v_add_f32_e32 v10, v10, v13
	v_sub_f32_e32 v13, v12, v15
	v_add_f32_e32 v12, v12, v15
	v_sub_f32_e32 v15, v15, v11
	v_mul_f32_e32 v18, 0x3f4a47b2, v18
	v_add_f32_e32 v7, v7, v10
	v_mul_f32_e32 v9, 0x3d64c772, v35
	v_mul_f32_e32 v13, 0x3f08b237, v13
	v_mul_f32_e32 v37, 0xbf5ff5aa, v15
	v_fmamk_f32 v35, v35, 0x3d64c772, v18
	v_fmamk_f32 v10, v10, 0xbf955555, v7
	v_add_f32_e32 v11, v12, v11
	v_fma_f32 v12, 0xbf3bfb3b, v8, -v18
	v_fma_f32 v8, 0x3f3bfb3b, v8, -v9
	v_fmamk_f32 v9, v36, 0xbeae86e6, v13
	v_fma_f32 v18, 0x3eae86e6, v36, -v37
	v_fma_f32 v15, 0xbf5ff5aa, v15, -v13
	v_add_f32_e32 v35, v35, v10
	v_add_f32_e32 v12, v12, v10
	v_fmac_f32_e32 v9, 0xbee1c552, v11
	v_fmac_f32_e32 v18, 0xbee1c552, v11
	;; [unrolled: 1-line block ×3, first 2 shown]
	v_add_f32_e32 v8, v8, v10
	v_add_nc_u32_e32 v36, 0x1800, v16
	v_add_f32_e32 v13, v9, v35
	v_sub_f32_e32 v10, v12, v18
	v_add_f32_e32 v12, v18, v12
	v_sub_f32_e32 v11, v8, v15
	;; [unrolled: 2-line block ×3, first 2 shown]
	ds_write2_b32 v36, v7, v13 offset0:81 offset1:114
	ds_write2_b32 v36, v12, v11 offset0:147 offset1:180
	;; [unrolled: 1-line block ×3, first 2 shown]
	ds_write_b32 v16, v9 offset:7260
.LBB0_33:
	s_or_b32 exec_lo, exec_lo, s0
	v_add_f32_e32 v7, v33, v45
	v_add_f32_e32 v8, v42, v44
	;; [unrolled: 1-line block ×3, first 2 shown]
	v_sub_f32_e32 v9, v34, v41
	v_sub_f32_e32 v11, v19, v40
	;; [unrolled: 1-line block ×3, first 2 shown]
	v_add_f32_e32 v13, v8, v7
	v_sub_f32_e32 v15, v8, v7
	v_sub_f32_e32 v7, v7, v10
	;; [unrolled: 1-line block ×3, first 2 shown]
	v_add_f32_e32 v18, v12, v11
	v_add_f32_e32 v10, v10, v13
	v_sub_f32_e32 v13, v12, v11
	v_sub_f32_e32 v11, v11, v9
	;; [unrolled: 1-line block ×3, first 2 shown]
	v_add_f32_e32 v32, v18, v9
	v_add_f32_e32 v33, v6, v10
	v_mul_f32_e32 v6, 0x3f4a47b2, v7
	v_mul_f32_e32 v7, 0x3d64c772, v8
	;; [unrolled: 1-line block ×4, first 2 shown]
	v_fmamk_f32 v34, v10, 0xbf955555, v33
	v_fmamk_f32 v8, v8, 0x3d64c772, v6
	v_fma_f32 v7, 0x3f3bfb3b, v15, -v7
	v_fma_f32 v35, 0xbf3bfb3b, v15, -v6
	v_add_nc_u32_e32 v15, 0x700, v0
	v_add_nc_u32_e32 v18, 0xe40, v0
	;; [unrolled: 1-line block ×3, first 2 shown]
	v_fmamk_f32 v36, v12, 0xbeae86e6, v9
	v_fma_f32 v37, 0xbf5ff5aa, v11, -v9
	v_fma_f32 v38, 0x3eae86e6, v12, -v13
	v_add_f32_e32 v39, v8, v34
	v_add_f32_e32 v40, v7, v34
	s_waitcnt lgkmcnt(0)
	s_barrier
	buffer_gl0_inv
	ds_read2_b32 v[6:7], v0 offset1:231
	ds_read2_b32 v[12:13], v15 offset0:14 offset1:245
	ds_read2_b32 v[10:11], v18 offset0:12 offset1:243
	;; [unrolled: 1-line block ×3, first 2 shown]
	v_fmac_f32_e32 v36, 0xbee1c552, v32
	v_add_f32_e32 v34, v35, v34
	v_fmac_f32_e32 v38, 0xbee1c552, v32
	v_fmac_f32_e32 v37, 0xbee1c552, v32
	s_waitcnt lgkmcnt(0)
	v_sub_f32_e32 v32, v39, v36
	v_add_f32_e32 v36, v36, v39
	v_sub_f32_e32 v35, v34, v38
	v_add_f32_e32 v41, v37, v40
	;; [unrolled: 2-line block ×3, first 2 shown]
	s_barrier
	buffer_gl0_inv
	ds_write2_b32 v17, v33, v32 offset1:33
	ds_write2_b32 v17, v35, v41 offset0:66 offset1:99
	ds_write2_b32 v17, v37, v34 offset0:132 offset1:165
	ds_write_b32 v17, v36 offset:792
	s_and_saveexec_b32 s0, s1
	s_cbranch_execz .LBB0_35
; %bb.34:
	v_add_f32_e32 v17, v29, v31
	v_add_f32_e32 v20, v30, v20
	;; [unrolled: 1-line block ×3, first 2 shown]
	v_sub_f32_e32 v21, v21, v25
	v_sub_f32_e32 v23, v24, v23
	;; [unrolled: 1-line block ×3, first 2 shown]
	v_add_f32_e32 v24, v20, v17
	v_sub_f32_e32 v25, v20, v17
	v_sub_f32_e32 v17, v17, v26
	;; [unrolled: 1-line block ×3, first 2 shown]
	v_add_f32_e32 v27, v23, v21
	v_add_f32_e32 v24, v26, v24
	v_sub_f32_e32 v26, v23, v21
	v_sub_f32_e32 v21, v21, v22
	;; [unrolled: 1-line block ×3, first 2 shown]
	v_add_f32_e32 v22, v27, v22
	v_add_f32_e32 v14, v14, v24
	v_mul_f32_e32 v17, 0x3f4a47b2, v17
	v_mul_f32_e32 v27, 0x3d64c772, v20
	;; [unrolled: 1-line block ×4, first 2 shown]
	v_fmamk_f32 v24, v24, 0xbf955555, v14
	v_fmamk_f32 v20, v20, 0x3d64c772, v17
	v_fma_f32 v27, 0x3f3bfb3b, v25, -v27
	v_fma_f32 v17, 0xbf3bfb3b, v25, -v17
	v_fmamk_f32 v25, v23, 0xbeae86e6, v26
	v_fma_f32 v21, 0xbf5ff5aa, v21, -v26
	v_fma_f32 v23, 0x3eae86e6, v23, -v28
	v_add_f32_e32 v20, v20, v24
	v_add_f32_e32 v26, v27, v24
	v_fmac_f32_e32 v25, 0xbee1c552, v22
	v_add_f32_e32 v17, v17, v24
	v_fmac_f32_e32 v23, 0xbee1c552, v22
	v_fmac_f32_e32 v21, 0xbee1c552, v22
	v_add_nc_u32_e32 v28, 0x1800, v16
	v_sub_f32_e32 v22, v20, v25
	v_add_f32_e32 v20, v25, v20
	v_sub_f32_e32 v24, v17, v23
	v_add_f32_e32 v27, v21, v26
	;; [unrolled: 2-line block ×3, first 2 shown]
	ds_write2_b32 v28, v14, v22 offset0:81 offset1:114
	ds_write2_b32 v28, v24, v27 offset0:147 offset1:180
	;; [unrolled: 1-line block ×3, first 2 shown]
	ds_write_b32 v16, v20 offset:7260
.LBB0_35:
	s_or_b32 exec_lo, exec_lo, s0
	v_mul_u32_u24_e32 v14, 3, v5
	s_waitcnt lgkmcnt(0)
	s_barrier
	buffer_gl0_inv
	v_lshlrev_b32_e32 v14, 3, v14
	s_clause 0x1
	global_load_dwordx4 v[20:23], v14, s[12:13] offset:1824
	global_load_dwordx2 v[16:17], v14, s[12:13] offset:1840
	ds_read2_b32 v[24:25], v15 offset0:14 offset1:245
	ds_read2_b32 v[26:27], v18 offset0:12 offset1:243
	;; [unrolled: 1-line block ×3, first 2 shown]
	ds_read2_b32 v[30:31], v0 offset1:231
	s_waitcnt vmcnt(0) lgkmcnt(0)
	s_barrier
	buffer_gl0_inv
	v_mul_f32_e32 v14, v24, v21
	v_mul_f32_e32 v33, v26, v23
	;; [unrolled: 1-line block ×12, first 2 shown]
	v_fmac_f32_e32 v14, v12, v20
	v_fmac_f32_e32 v33, v10, v22
	;; [unrolled: 1-line block ×3, first 2 shown]
	v_fma_f32 v10, v26, v22, -v34
	v_fmac_f32_e32 v37, v13, v20
	v_fmac_f32_e32 v38, v11, v22
	;; [unrolled: 1-line block ×3, first 2 shown]
	v_fma_f32 v12, v24, v20, -v32
	v_fma_f32 v8, v28, v16, -v36
	;; [unrolled: 1-line block ×5, first 2 shown]
	v_sub_f32_e32 v16, v6, v33
	v_sub_f32_e32 v20, v14, v35
	;; [unrolled: 1-line block ×7, first 2 shown]
	v_fma_f32 v6, v6, 2.0, -v16
	v_fma_f32 v11, v14, 2.0, -v20
	v_sub_f32_e32 v9, v13, v9
	v_fma_f32 v7, v7, 2.0, -v10
	v_fma_f32 v14, v37, 2.0, -v22
	;; [unrolled: 1-line block ×3, first 2 shown]
	v_add_f32_e32 v8, v16, v8
	v_sub_f32_e32 v11, v6, v11
	v_add_f32_e32 v12, v10, v9
	v_sub_f32_e32 v14, v7, v14
	v_fma_f32 v26, v13, 2.0, -v9
	v_fma_f32 v16, v16, 2.0, -v8
	;; [unrolled: 1-line block ×5, first 2 shown]
	ds_write2_b32 v15, v11, v8 offset0:14 offset1:245
	ds_write2_b32 v19, v14, v12 offset0:10 offset1:241
	ds_write2_b32 v0, v6, v16 offset1:231
	ds_write2_b32 v18, v7, v10 offset0:12 offset1:243
	s_waitcnt lgkmcnt(0)
	s_barrier
	buffer_gl0_inv
	ds_read2_b32 v[7:8], v0 offset1:231
	ds_read2_b32 v[11:12], v18 offset0:12 offset1:243
	ds_read2_b32 v[9:10], v15 offset0:14 offset1:245
	;; [unrolled: 1-line block ×3, first 2 shown]
	v_fma_f32 v23, v30, 2.0, -v17
	v_fma_f32 v25, v31, 2.0, -v21
	v_sub_f32_e32 v16, v17, v20
	v_sub_f32_e32 v22, v21, v22
	s_waitcnt lgkmcnt(0)
	v_sub_f32_e32 v6, v23, v24
	v_sub_f32_e32 v20, v25, v26
	v_fma_f32 v17, v17, 2.0, -v16
	v_fma_f32 v21, v21, 2.0, -v22
	s_barrier
	v_fma_f32 v23, v23, 2.0, -v6
	v_fma_f32 v24, v25, 2.0, -v20
	buffer_gl0_inv
	ds_write2_b32 v0, v23, v17 offset1:231
	ds_write2_b32 v15, v6, v16 offset0:14 offset1:245
	ds_write2_b32 v18, v24, v21 offset0:12 offset1:243
	;; [unrolled: 1-line block ×3, first 2 shown]
	s_waitcnt lgkmcnt(0)
	s_barrier
	buffer_gl0_inv
	s_and_saveexec_b32 s0, vcc_lo
	s_cbranch_execz .LBB0_37
; %bb.36:
	v_mov_b32_e32 v16, 0
	v_add_nc_u32_e32 v15, 0x2b5, v5
	v_add_nc_u32_e32 v17, 0x1ce, v5
	v_add_nc_u32_e32 v33, 0xe7, v5
	v_add_nc_u32_e32 v35, 0x2b5, v5
	v_mov_b32_e32 v18, v16
	v_lshlrev_b64 v[19:20], 3, v[15:16]
	v_mov_b32_e32 v6, v16
	v_lshrrev_b32_e32 v30, 2, v33
	v_lshrrev_b32_e32 v28, 2, v5
	v_lshlrev_b64 v[17:18], 3, v[17:18]
	v_add_nc_u32_e32 v34, 0x1ce, v5
	v_add_co_u32 v15, vcc_lo, s12, v19
	v_add_co_ci_u32_e32 v22, vcc_lo, s13, v20, vcc_lo
	v_lshlrev_b64 v[19:20], 3, v[5:6]
	v_add_co_u32 v21, vcc_lo, 0x1800, v15
	v_add_co_ci_u32_e32 v22, vcc_lo, 0, v22, vcc_lo
	v_add_co_u32 v6, vcc_lo, s12, v17
	v_add_co_ci_u32_e32 v15, vcc_lo, s13, v18, vcc_lo
	;; [unrolled: 2-line block ×4, first 2 shown]
	global_load_dwordx2 v[17:18], v[21:22], off offset:1224
	v_add_co_u32 v21, vcc_lo, 0x2000, v23
	v_add_co_ci_u32_e32 v22, vcc_lo, 0, v24, vcc_lo
	v_add_co_u32 v23, vcc_lo, 0x1800, v23
	v_add_co_ci_u32_e32 v24, vcc_lo, 0, v24, vcc_lo
	s_clause 0x2
	global_load_dwordx2 v[19:20], v[19:20], off offset:1224
	global_load_dwordx2 v[21:22], v[21:22], off offset:1024
	;; [unrolled: 1-line block ×3, first 2 shown]
	v_mul_lo_u32 v6, s3, v3
	v_mul_lo_u32 v15, s2, v4
	v_mad_u64_u32 v[3:4], null, s2, v3, 0
	v_lshrrev_b32_e32 v36, 2, v35
	v_mul_hi_u32 v37, 0x23769481, v30
	v_add_nc_u32_e32 v27, 0x700, v0
	v_add_nc_u32_e32 v29, 0x1580, v0
	ds_read2_b32 v[25:26], v0 offset1:231
	v_add_nc_u32_e32 v31, 0xe40, v0
	v_lshlrev_b64 v[0:1], 3, v[1:2]
	v_mul_hi_u32 v2, 0x23769481, v28
	v_lshrrev_b32_e32 v32, 2, v34
	v_add3_u32 v4, v4, v15, v6
	v_mul_hi_u32 v15, 0x23769481, v36
	v_lshrrev_b32_e32 v37, 5, v37
	ds_read2_b32 v[27:28], v27 offset0:14 offset1:245
	v_mul_hi_u32 v6, 0x23769481, v32
	ds_read2_b32 v[29:30], v29 offset0:10 offset1:241
	ds_read2_b32 v[31:32], v31 offset0:12 offset1:243
	v_lshrrev_b32_e32 v36, 5, v2
	v_lshlrev_b64 v[2:3], 3, v[3:4]
	v_lshrrev_b32_e32 v39, 5, v15
	v_mul_u32_u24_e32 v15, 0x39c, v37
	v_mul_u32_u24_e32 v4, 0x39c, v36
	v_lshrrev_b32_e32 v6, 5, v6
	v_add_co_u32 v2, vcc_lo, s10, v2
	v_sub_nc_u32_e32 v15, v33, v15
	v_add_co_ci_u32_e32 v3, vcc_lo, s11, v3, vcc_lo
	v_sub_nc_u32_e32 v4, v5, v4
	v_mul_u32_u24_e32 v5, 0x39c, v6
	v_mad_u32_u24 v15, 0x738, v37, v15
	v_add_co_u32 v41, vcc_lo, v2, v0
	v_add_co_ci_u32_e32 v42, vcc_lo, v3, v1, vcc_lo
	v_sub_nc_u32_e32 v38, v34, v5
	v_lshlrev_b64 v[2:3], 3, v[15:16]
	v_add_nc_u32_e32 v15, 0x39c, v15
	v_lshlrev_b32_e32 v0, 3, v4
	v_mul_u32_u24_e32 v36, 0x39c, v39
	v_lshlrev_b64 v[33:34], 3, v[15:16]
	v_mad_u32_u24 v15, 0x738, v6, v38
	v_add_co_u32 v0, vcc_lo, v41, v0
	v_sub_nc_u32_e32 v40, v35, v36
	v_add_co_ci_u32_e32 v1, vcc_lo, 0, v42, vcc_lo
	v_lshlrev_b64 v[35:36], 3, v[15:16]
	v_add_nc_u32_e32 v15, 0x39c, v15
	v_add_co_u32 v4, vcc_lo, 0x1800, v0
	v_add_co_ci_u32_e32 v5, vcc_lo, 0, v1, vcc_lo
	v_lshlrev_b64 v[37:38], 3, v[15:16]
	v_mad_u32_u24 v15, 0x738, v39, v40
	v_add_co_u32 v2, vcc_lo, v41, v2
	v_add_co_ci_u32_e32 v3, vcc_lo, v42, v3, vcc_lo
	v_add_co_u32 v33, vcc_lo, v41, v33
	v_lshlrev_b64 v[39:40], 3, v[15:16]
	v_add_nc_u32_e32 v15, 0x39c, v15
	v_add_co_ci_u32_e32 v34, vcc_lo, v42, v34, vcc_lo
	v_add_co_u32 v35, vcc_lo, v41, v35
	v_add_co_ci_u32_e32 v36, vcc_lo, v42, v36, vcc_lo
	v_add_co_u32 v37, vcc_lo, v41, v37
	v_lshlrev_b64 v[15:16], 3, v[15:16]
	v_add_co_ci_u32_e32 v38, vcc_lo, v42, v38, vcc_lo
	v_add_co_u32 v39, vcc_lo, v41, v39
	v_add_co_ci_u32_e32 v40, vcc_lo, v42, v40, vcc_lo
	v_add_co_u32 v15, vcc_lo, v41, v15
	v_add_co_ci_u32_e32 v16, vcc_lo, v42, v16, vcc_lo
	s_waitcnt vmcnt(3)
	v_mul_f32_e32 v6, v14, v18
	s_waitcnt lgkmcnt(1)
	v_mul_f32_e32 v43, v30, v18
	v_fma_f32 v6, v30, v17, -v6
	v_fmac_f32_e32 v43, v14, v17
	s_waitcnt vmcnt(2)
	v_mul_f32_e32 v14, v13, v20
	v_mul_f32_e32 v30, v29, v20
	s_waitcnt vmcnt(1)
	v_mul_f32_e32 v20, v12, v22
	s_waitcnt lgkmcnt(0)
	v_mul_f32_e32 v41, v32, v22
	s_waitcnt vmcnt(0)
	v_mul_f32_e32 v22, v11, v24
	v_mul_f32_e32 v24, v31, v24
	v_sub_f32_e32 v18, v28, v6
	v_fma_f32 v6, v29, v19, -v14
	v_fma_f32 v14, v32, v21, -v20
	v_fmac_f32_e32 v41, v12, v21
	v_fma_f32 v12, v31, v23, -v22
	v_fmac_f32_e32 v24, v11, v23
	v_fmac_f32_e32 v30, v13, v19
	v_sub_f32_e32 v20, v26, v14
	v_sub_f32_e32 v19, v8, v41
	;; [unrolled: 1-line block ×7, first 2 shown]
	v_fma_f32 v24, v26, 2.0, -v20
	v_fma_f32 v26, v25, 2.0, -v22
	v_fma_f32 v25, v7, 2.0, -v21
	v_fma_f32 v23, v8, 2.0, -v19
	v_fma_f32 v7, v27, 2.0, -v13
	v_fma_f32 v6, v9, 2.0, -v12
	v_fma_f32 v11, v28, 2.0, -v18
	v_fma_f32 v10, v10, 2.0, -v17
	global_store_dwordx2 v[4:5], v[21:22], off offset:1248
	global_store_dwordx2 v[0:1], v[25:26], off
	global_store_dwordx2 v[2:3], v[23:24], off
	;; [unrolled: 1-line block ×7, first 2 shown]
.LBB0_37:
	s_endpgm
	.section	.rodata,"a",@progbits
	.p2align	6, 0x0
	.amdhsa_kernel fft_rtc_back_len1848_factors_3_11_7_4_2_wgs_231_tpt_231_halfLds_sp_op_CI_CI_unitstride_sbrr_dirReg
		.amdhsa_group_segment_fixed_size 0
		.amdhsa_private_segment_fixed_size 0
		.amdhsa_kernarg_size 104
		.amdhsa_user_sgpr_count 6
		.amdhsa_user_sgpr_private_segment_buffer 1
		.amdhsa_user_sgpr_dispatch_ptr 0
		.amdhsa_user_sgpr_queue_ptr 0
		.amdhsa_user_sgpr_kernarg_segment_ptr 1
		.amdhsa_user_sgpr_dispatch_id 0
		.amdhsa_user_sgpr_flat_scratch_init 0
		.amdhsa_user_sgpr_private_segment_size 0
		.amdhsa_wavefront_size32 1
		.amdhsa_uses_dynamic_stack 0
		.amdhsa_system_sgpr_private_segment_wavefront_offset 0
		.amdhsa_system_sgpr_workgroup_id_x 1
		.amdhsa_system_sgpr_workgroup_id_y 0
		.amdhsa_system_sgpr_workgroup_id_z 0
		.amdhsa_system_sgpr_workgroup_info 0
		.amdhsa_system_vgpr_workitem_id 0
		.amdhsa_next_free_vgpr 84
		.amdhsa_next_free_sgpr 27
		.amdhsa_reserve_vcc 1
		.amdhsa_reserve_flat_scratch 0
		.amdhsa_float_round_mode_32 0
		.amdhsa_float_round_mode_16_64 0
		.amdhsa_float_denorm_mode_32 3
		.amdhsa_float_denorm_mode_16_64 3
		.amdhsa_dx10_clamp 1
		.amdhsa_ieee_mode 1
		.amdhsa_fp16_overflow 0
		.amdhsa_workgroup_processor_mode 1
		.amdhsa_memory_ordered 1
		.amdhsa_forward_progress 0
		.amdhsa_shared_vgpr_count 0
		.amdhsa_exception_fp_ieee_invalid_op 0
		.amdhsa_exception_fp_denorm_src 0
		.amdhsa_exception_fp_ieee_div_zero 0
		.amdhsa_exception_fp_ieee_overflow 0
		.amdhsa_exception_fp_ieee_underflow 0
		.amdhsa_exception_fp_ieee_inexact 0
		.amdhsa_exception_int_div_zero 0
	.end_amdhsa_kernel
	.text
.Lfunc_end0:
	.size	fft_rtc_back_len1848_factors_3_11_7_4_2_wgs_231_tpt_231_halfLds_sp_op_CI_CI_unitstride_sbrr_dirReg, .Lfunc_end0-fft_rtc_back_len1848_factors_3_11_7_4_2_wgs_231_tpt_231_halfLds_sp_op_CI_CI_unitstride_sbrr_dirReg
                                        ; -- End function
	.section	.AMDGPU.csdata,"",@progbits
; Kernel info:
; codeLenInByte = 8228
; NumSgprs: 29
; NumVgprs: 84
; ScratchSize: 0
; MemoryBound: 0
; FloatMode: 240
; IeeeMode: 1
; LDSByteSize: 0 bytes/workgroup (compile time only)
; SGPRBlocks: 3
; VGPRBlocks: 10
; NumSGPRsForWavesPerEU: 29
; NumVGPRsForWavesPerEU: 84
; Occupancy: 10
; WaveLimiterHint : 1
; COMPUTE_PGM_RSRC2:SCRATCH_EN: 0
; COMPUTE_PGM_RSRC2:USER_SGPR: 6
; COMPUTE_PGM_RSRC2:TRAP_HANDLER: 0
; COMPUTE_PGM_RSRC2:TGID_X_EN: 1
; COMPUTE_PGM_RSRC2:TGID_Y_EN: 0
; COMPUTE_PGM_RSRC2:TGID_Z_EN: 0
; COMPUTE_PGM_RSRC2:TIDIG_COMP_CNT: 0
	.text
	.p2alignl 6, 3214868480
	.fill 48, 4, 3214868480
	.type	__hip_cuid_ae33c7f126540942,@object ; @__hip_cuid_ae33c7f126540942
	.section	.bss,"aw",@nobits
	.globl	__hip_cuid_ae33c7f126540942
__hip_cuid_ae33c7f126540942:
	.byte	0                               ; 0x0
	.size	__hip_cuid_ae33c7f126540942, 1

	.ident	"AMD clang version 19.0.0git (https://github.com/RadeonOpenCompute/llvm-project roc-6.4.0 25133 c7fe45cf4b819c5991fe208aaa96edf142730f1d)"
	.section	".note.GNU-stack","",@progbits
	.addrsig
	.addrsig_sym __hip_cuid_ae33c7f126540942
	.amdgpu_metadata
---
amdhsa.kernels:
  - .args:
      - .actual_access:  read_only
        .address_space:  global
        .offset:         0
        .size:           8
        .value_kind:     global_buffer
      - .offset:         8
        .size:           8
        .value_kind:     by_value
      - .actual_access:  read_only
        .address_space:  global
        .offset:         16
        .size:           8
        .value_kind:     global_buffer
      - .actual_access:  read_only
        .address_space:  global
        .offset:         24
        .size:           8
        .value_kind:     global_buffer
      - .actual_access:  read_only
        .address_space:  global
        .offset:         32
        .size:           8
        .value_kind:     global_buffer
      - .offset:         40
        .size:           8
        .value_kind:     by_value
      - .actual_access:  read_only
        .address_space:  global
        .offset:         48
        .size:           8
        .value_kind:     global_buffer
      - .actual_access:  read_only
        .address_space:  global
        .offset:         56
        .size:           8
        .value_kind:     global_buffer
      - .offset:         64
        .size:           4
        .value_kind:     by_value
      - .actual_access:  read_only
        .address_space:  global
        .offset:         72
        .size:           8
        .value_kind:     global_buffer
      - .actual_access:  read_only
        .address_space:  global
        .offset:         80
        .size:           8
        .value_kind:     global_buffer
      - .actual_access:  read_only
        .address_space:  global
        .offset:         88
        .size:           8
        .value_kind:     global_buffer
      - .actual_access:  write_only
        .address_space:  global
        .offset:         96
        .size:           8
        .value_kind:     global_buffer
    .group_segment_fixed_size: 0
    .kernarg_segment_align: 8
    .kernarg_segment_size: 104
    .language:       OpenCL C
    .language_version:
      - 2
      - 0
    .max_flat_workgroup_size: 231
    .name:           fft_rtc_back_len1848_factors_3_11_7_4_2_wgs_231_tpt_231_halfLds_sp_op_CI_CI_unitstride_sbrr_dirReg
    .private_segment_fixed_size: 0
    .sgpr_count:     29
    .sgpr_spill_count: 0
    .symbol:         fft_rtc_back_len1848_factors_3_11_7_4_2_wgs_231_tpt_231_halfLds_sp_op_CI_CI_unitstride_sbrr_dirReg.kd
    .uniform_work_group_size: 1
    .uses_dynamic_stack: false
    .vgpr_count:     84
    .vgpr_spill_count: 0
    .wavefront_size: 32
    .workgroup_processor_mode: 1
amdhsa.target:   amdgcn-amd-amdhsa--gfx1030
amdhsa.version:
  - 1
  - 2
...

	.end_amdgpu_metadata
